;; amdgpu-corpus repo=zjin-lcf/HeCBench kind=compiled arch=gfx906 opt=O3
	.amdgcn_target "amdgcn-amd-amdhsa--gfx906"
	.amdhsa_code_object_version 6
	.text
	.protected	_Z11firstColGPUPji      ; -- Begin function _Z11firstColGPUPji
	.globl	_Z11firstColGPUPji
	.p2align	8
	.type	_Z11firstColGPUPji,@function
_Z11firstColGPUPji:                     ; @_Z11firstColGPUPji
; %bb.0:
	s_load_dwordx2 s[2:3], s[4:5], 0x0
	s_load_dword s0, s[4:5], 0x8
	v_lshlrev_b32_e32 v2, 2, v0
	s_waitcnt lgkmcnt(0)
	global_load_dword v1, v2, s[2:3]
	s_cmpk_lt_i32 s0, 0x200
	s_waitcnt vmcnt(0)
	ds_write_b32 v2, v1
	s_waitcnt lgkmcnt(0)
	s_barrier
	s_cbranch_scc1 .LBB0_19
; %bb.1:
	s_lshr_b32 s4, s0, 8
	v_cmp_gt_u32_e64 s[0:1], 32, v0
	v_mov_b32_e32 v0, s3
	v_add_co_u32_e32 v1, vcc, s2, v2
	v_addc_co_u32_e32 v3, vcc, 0, v0, vcc
	v_add_co_u32_e32 v0, vcc, 0x400, v1
	v_addc_co_u32_e32 v1, vcc, 0, v3, vcc
	s_add_i32 s4, s4, -1
	v_add_u32_e32 v3, 36, v2
	v_add_u32_e32 v4, 0xa4, v2
	v_add_u32_e32 v5, 0x200, v2
	s_branch .LBB0_3
.LBB0_2:                                ;   in Loop: Header=BB0_3 Depth=1
	s_or_b64 exec, exec, s[2:3]
	s_waitcnt lgkmcnt(0)
	s_barrier
	ds_read_b32 v6, v2 offset:1024
	s_add_i32 s4, s4, -1
	s_cmp_eq_u32 s4, 0
	s_waitcnt lgkmcnt(0)
	global_store_dword v[0:1], v6, off
	v_add_co_u32_e32 v0, vcc, 0x400, v0
	v_addc_co_u32_e32 v1, vcc, 0, v1, vcc
	ds_write_b32 v2, v6
	s_waitcnt vmcnt(0) lgkmcnt(0)
	s_barrier
	s_cbranch_scc1 .LBB0_19
.LBB0_3:                                ; =>This Inner Loop Header: Depth=1
	s_and_saveexec_b64 s[2:3], s[0:1]
	s_cbranch_execz .LBB0_5
; %bb.4:                                ;   in Loop: Header=BB0_3 Depth=1
	ds_read2_b32 v[6:7], v2 offset0:137 offset1:201
	ds_read2_b32 v[8:9], v2 offset1:77
	s_waitcnt lgkmcnt(1)
	v_add_u32_e32 v6, v6, v7
	s_waitcnt lgkmcnt(0)
	v_add3_u32 v6, v6, v9, v8
	ds_write_b32 v2, v6 offset:1024
.LBB0_5:                                ;   in Loop: Header=BB0_3 Depth=1
	s_or_b64 exec, exec, s[2:3]
	s_waitcnt lgkmcnt(0)
	s_barrier
	s_and_saveexec_b64 s[2:3], s[0:1]
	s_cbranch_execz .LBB0_7
; %bb.6:                                ;   in Loop: Header=BB0_3 Depth=1
	ds_read2_b32 v[6:7], v2 offset0:169 offset1:233
	ds_read2_b32 v[8:9], v2 offset0:32 offset1:109
	s_waitcnt lgkmcnt(1)
	v_add_u32_e32 v6, v6, v7
	s_waitcnt lgkmcnt(0)
	v_add3_u32 v6, v6, v9, v8
	ds_write_b32 v2, v6 offset:1152
.LBB0_7:                                ;   in Loop: Header=BB0_3 Depth=1
	s_or_b64 exec, exec, s[2:3]
	s_waitcnt lgkmcnt(0)
	s_barrier
	s_and_saveexec_b64 s[2:3], s[0:1]
	s_cbranch_execz .LBB0_9
; %bb.8:                                ;   in Loop: Header=BB0_3 Depth=1
	ds_read2st64_b32 v[6:7], v3 offset0:3 offset1:4
	ds_read2_b32 v[8:9], v2 offset0:64 offset1:141
	s_waitcnt lgkmcnt(1)
	v_add_u32_e32 v6, v6, v7
	s_waitcnt lgkmcnt(0)
	v_add3_u32 v6, v6, v9, v8
	ds_write_b32 v2, v6 offset:1280
.LBB0_9:                                ;   in Loop: Header=BB0_3 Depth=1
	s_or_b64 exec, exec, s[2:3]
	s_waitcnt lgkmcnt(0)
	s_barrier
	s_and_saveexec_b64 s[2:3], s[0:1]
	s_cbranch_execz .LBB0_11
; %bb.10:                               ;   in Loop: Header=BB0_3 Depth=1
	ds_read2st64_b32 v[6:7], v4 offset0:3 offset1:4
	ds_read2_b32 v[8:9], v2 offset0:96 offset1:173
	s_waitcnt lgkmcnt(1)
	v_add_u32_e32 v6, v6, v7
	s_waitcnt lgkmcnt(0)
	v_add3_u32 v6, v6, v9, v8
	ds_write_b32 v2, v6 offset:1408
.LBB0_11:                               ;   in Loop: Header=BB0_3 Depth=1
	s_or_b64 exec, exec, s[2:3]
	s_waitcnt lgkmcnt(0)
	s_barrier
	s_and_saveexec_b64 s[2:3], s[0:1]
	s_cbranch_execz .LBB0_13
; %bb.12:                               ;   in Loop: Header=BB0_3 Depth=1
	ds_read2st64_b32 v[6:7], v3 offset0:4 offset1:5
	ds_read2_b32 v[8:9], v2 offset0:128 offset1:205
	s_waitcnt lgkmcnt(1)
	v_add_u32_e32 v6, v6, v7
	s_waitcnt lgkmcnt(0)
	v_add3_u32 v6, v6, v9, v8
	ds_write_b32 v2, v6 offset:1536
.LBB0_13:                               ;   in Loop: Header=BB0_3 Depth=1
	;; [unrolled: 14-line block ×4, first 2 shown]
	s_or_b64 exec, exec, s[2:3]
	s_waitcnt lgkmcnt(0)
	s_barrier
	s_and_saveexec_b64 s[2:3], s[0:1]
	s_cbranch_execz .LBB0_2
; %bb.18:                               ;   in Loop: Header=BB0_3 Depth=1
	ds_read2st64_b32 v[6:7], v4 offset0:5 offset1:6
	ds_read2_b32 v[8:9], v5 offset0:96 offset1:173
	s_waitcnt lgkmcnt(1)
	v_add_u32_e32 v6, v6, v7
	s_waitcnt lgkmcnt(0)
	v_add3_u32 v6, v6, v9, v8
	ds_write_b32 v2, v6 offset:1920
	s_branch .LBB0_2
.LBB0_19:
	s_endpgm
	.section	.rodata,"a",@progbits
	.p2align	6, 0x0
	.amdhsa_kernel _Z11firstColGPUPji
		.amdhsa_group_segment_fixed_size 2048
		.amdhsa_private_segment_fixed_size 0
		.amdhsa_kernarg_size 12
		.amdhsa_user_sgpr_count 6
		.amdhsa_user_sgpr_private_segment_buffer 1
		.amdhsa_user_sgpr_dispatch_ptr 0
		.amdhsa_user_sgpr_queue_ptr 0
		.amdhsa_user_sgpr_kernarg_segment_ptr 1
		.amdhsa_user_sgpr_dispatch_id 0
		.amdhsa_user_sgpr_flat_scratch_init 0
		.amdhsa_user_sgpr_private_segment_size 0
		.amdhsa_uses_dynamic_stack 0
		.amdhsa_system_sgpr_private_segment_wavefront_offset 0
		.amdhsa_system_sgpr_workgroup_id_x 1
		.amdhsa_system_sgpr_workgroup_id_y 0
		.amdhsa_system_sgpr_workgroup_id_z 0
		.amdhsa_system_sgpr_workgroup_info 0
		.amdhsa_system_vgpr_workitem_id 0
		.amdhsa_next_free_vgpr 29
		.amdhsa_next_free_sgpr 61
		.amdhsa_reserve_vcc 1
		.amdhsa_reserve_flat_scratch 0
		.amdhsa_float_round_mode_32 0
		.amdhsa_float_round_mode_16_64 0
		.amdhsa_float_denorm_mode_32 3
		.amdhsa_float_denorm_mode_16_64 3
		.amdhsa_dx10_clamp 1
		.amdhsa_ieee_mode 1
		.amdhsa_fp16_overflow 0
		.amdhsa_exception_fp_ieee_invalid_op 0
		.amdhsa_exception_fp_denorm_src 0
		.amdhsa_exception_fp_ieee_div_zero 0
		.amdhsa_exception_fp_ieee_overflow 0
		.amdhsa_exception_fp_ieee_underflow 0
		.amdhsa_exception_fp_ieee_inexact 0
		.amdhsa_exception_int_div_zero 0
	.end_amdhsa_kernel
	.text
.Lfunc_end0:
	.size	_Z11firstColGPUPji, .Lfunc_end0-_Z11firstColGPUPji
                                        ; -- End function
	.set _Z11firstColGPUPji.num_vgpr, 10
	.set _Z11firstColGPUPji.num_agpr, 0
	.set _Z11firstColGPUPji.numbered_sgpr, 6
	.set _Z11firstColGPUPji.num_named_barrier, 0
	.set _Z11firstColGPUPji.private_seg_size, 0
	.set _Z11firstColGPUPji.uses_vcc, 1
	.set _Z11firstColGPUPji.uses_flat_scratch, 0
	.set _Z11firstColGPUPji.has_dyn_sized_stack, 0
	.set _Z11firstColGPUPji.has_recursion, 0
	.set _Z11firstColGPUPji.has_indirect_call, 0
	.section	.AMDGPU.csdata,"",@progbits
; Kernel info:
; codeLenInByte = 704
; TotalNumSgprs: 10
; NumVgprs: 10
; ScratchSize: 0
; MemoryBound: 0
; FloatMode: 240
; IeeeMode: 1
; LDSByteSize: 2048 bytes/workgroup (compile time only)
; SGPRBlocks: 8
; VGPRBlocks: 7
; NumSGPRsForWavesPerEU: 65
; NumVGPRsForWavesPerEU: 29
; Occupancy: 8
; WaveLimiterHint : 0
; COMPUTE_PGM_RSRC2:SCRATCH_EN: 0
; COMPUTE_PGM_RSRC2:USER_SGPR: 6
; COMPUTE_PGM_RSRC2:TRAP_HANDLER: 0
; COMPUTE_PGM_RSRC2:TGID_X_EN: 1
; COMPUTE_PGM_RSRC2:TGID_Y_EN: 0
; COMPUTE_PGM_RSRC2:TGID_Z_EN: 0
; COMPUTE_PGM_RSRC2:TIDIG_COMP_CNT: 0
	.text
	.protected	_Z7colYGPUPji           ; -- Begin function _Z7colYGPUPji
	.globl	_Z7colYGPUPji
	.p2align	8
	.type	_Z7colYGPUPji,@function
_Z7colYGPUPji:                          ; @_Z7colYGPUPji
; %bb.0:
	s_load_dwordx2 s[2:3], s[4:5], 0x0
	s_load_dword s0, s[4:5], 0x8
	v_lshlrev_b32_e32 v3, 2, v0
	s_waitcnt lgkmcnt(0)
	global_load_dword v4, v3, s[2:3] offset:2048
	v_mov_b32_e32 v2, s3
	v_add_co_u32_e32 v1, vcc, s2, v3
	s_cmpk_lt_i32 s0, 0x100
	v_addc_co_u32_e32 v2, vcc, 0, v2, vcc
	s_waitcnt vmcnt(0)
	ds_write_b32 v3, v4 offset:2048
	s_waitcnt lgkmcnt(0)
	s_barrier
	s_cbranch_scc1 .LBB1_19
; %bb.1:
	s_ashr_i32 s1, s0, 31
	s_lshr_b32 s1, s1, 24
	s_add_i32 s0, s0, s1
	s_ashr_i32 s2, s0, 8
	v_cmp_gt_u32_e32 vcc, 32, v0
	v_add_u32_e32 v0, 36, v3
	v_add_u32_e32 v4, 0x400, v3
	;; [unrolled: 1-line block ×4, first 2 shown]
	s_branch .LBB1_3
.LBB1_2:                                ;   in Loop: Header=BB1_3 Depth=1
	s_or_b64 exec, exec, s[0:1]
	s_add_i32 s2, s2, -1
	s_cmp_eq_u32 s2, 0
	s_waitcnt lgkmcnt(0)
	s_barrier
	s_cbranch_scc1 .LBB1_19
.LBB1_3:                                ; =>This Inner Loop Header: Depth=1
	ds_read2st64_b32 v[7:8], v3 offset0:4 offset1:8
	s_waitcnt lgkmcnt(0)
	ds_write2st64_b32 v3, v7, v8 offset1:4
	s_waitcnt lgkmcnt(0)
	s_barrier
	s_and_saveexec_b64 s[0:1], vcc
	s_cbranch_execz .LBB1_5
; %bb.4:                                ;   in Loop: Header=BB1_3 Depth=1
	ds_read2st64_b32 v[7:8], v0 offset0:6 offset1:7
	ds_read2_b32 v[9:10], v4 offset1:77
	s_waitcnt lgkmcnt(1)
	v_add_u32_e32 v7, v7, v8
	s_waitcnt lgkmcnt(0)
	v_add3_u32 v7, v7, v10, v9
	ds_write_b32 v3, v7 offset:2048
.LBB1_5:                                ;   in Loop: Header=BB1_3 Depth=1
	s_or_b64 exec, exec, s[0:1]
	s_waitcnt lgkmcnt(0)
	s_barrier
	s_and_saveexec_b64 s[0:1], vcc
	s_cbranch_execz .LBB1_7
; %bb.6:                                ;   in Loop: Header=BB1_3 Depth=1
	ds_read2st64_b32 v[7:8], v5 offset0:6 offset1:7
	ds_read2_b32 v[9:10], v4 offset0:32 offset1:109
	s_waitcnt lgkmcnt(1)
	v_add_u32_e32 v7, v7, v8
	s_waitcnt lgkmcnt(0)
	v_add3_u32 v7, v7, v10, v9
	ds_write_b32 v3, v7 offset:2176
.LBB1_7:                                ;   in Loop: Header=BB1_3 Depth=1
	s_or_b64 exec, exec, s[0:1]
	s_waitcnt lgkmcnt(0)
	s_barrier
	s_and_saveexec_b64 s[0:1], vcc
	s_cbranch_execz .LBB1_9
; %bb.8:                                ;   in Loop: Header=BB1_3 Depth=1
	ds_read2st64_b32 v[7:8], v0 offset0:7 offset1:8
	ds_read2_b32 v[9:10], v4 offset0:64 offset1:141
	s_waitcnt lgkmcnt(1)
	v_add_u32_e32 v7, v7, v8
	s_waitcnt lgkmcnt(0)
	v_add3_u32 v7, v7, v10, v9
	ds_write_b32 v3, v7 offset:2304
.LBB1_9:                                ;   in Loop: Header=BB1_3 Depth=1
	s_or_b64 exec, exec, s[0:1]
	s_waitcnt lgkmcnt(0)
	s_barrier
	s_and_saveexec_b64 s[0:1], vcc
	s_cbranch_execz .LBB1_11
; %bb.10:                               ;   in Loop: Header=BB1_3 Depth=1
	ds_read2st64_b32 v[7:8], v5 offset0:7 offset1:8
	ds_read2_b32 v[9:10], v4 offset0:96 offset1:173
	s_waitcnt lgkmcnt(1)
	v_add_u32_e32 v7, v7, v8
	s_waitcnt lgkmcnt(0)
	v_add3_u32 v7, v7, v10, v9
	ds_write_b32 v3, v7 offset:2432
.LBB1_11:                               ;   in Loop: Header=BB1_3 Depth=1
	s_or_b64 exec, exec, s[0:1]
	s_waitcnt lgkmcnt(0)
	s_barrier
	s_and_saveexec_b64 s[0:1], vcc
	s_cbranch_execz .LBB1_13
; %bb.12:                               ;   in Loop: Header=BB1_3 Depth=1
	ds_read2st64_b32 v[7:8], v0 offset0:8 offset1:9
	ds_read2_b32 v[9:10], v4 offset0:128 offset1:205
	s_waitcnt lgkmcnt(1)
	v_add_u32_e32 v7, v7, v8
	s_waitcnt lgkmcnt(0)
	v_add3_u32 v7, v7, v10, v9
	ds_write_b32 v3, v7 offset:2560
.LBB1_13:                               ;   in Loop: Header=BB1_3 Depth=1
	;; [unrolled: 14-line block ×4, first 2 shown]
	s_or_b64 exec, exec, s[0:1]
	s_waitcnt lgkmcnt(0)
	s_barrier
	s_and_saveexec_b64 s[0:1], vcc
	s_cbranch_execz .LBB1_2
; %bb.18:                               ;   in Loop: Header=BB1_3 Depth=1
	ds_read2st64_b32 v[7:8], v5 offset0:9 offset1:10
	ds_read2_b32 v[9:10], v6 offset0:96 offset1:173
	s_waitcnt lgkmcnt(1)
	v_add_u32_e32 v7, v7, v8
	s_waitcnt lgkmcnt(0)
	v_add3_u32 v7, v7, v10, v9
	ds_write_b32 v3, v7 offset:2944
	s_branch .LBB1_2
.LBB1_19:
	ds_read_b32 v0, v3 offset:2048
	ds_read2st64_b32 v[3:4], v3 offset1:4
	s_waitcnt lgkmcnt(1)
	global_store_dword v[1:2], v0, off offset:2048
	s_waitcnt lgkmcnt(0)
	global_store_dword v[1:2], v4, off offset:1024
	global_store_dword v[1:2], v3, off
	s_endpgm
	.section	.rodata,"a",@progbits
	.p2align	6, 0x0
	.amdhsa_kernel _Z7colYGPUPji
		.amdhsa_group_segment_fixed_size 3072
		.amdhsa_private_segment_fixed_size 0
		.amdhsa_kernarg_size 12
		.amdhsa_user_sgpr_count 6
		.amdhsa_user_sgpr_private_segment_buffer 1
		.amdhsa_user_sgpr_dispatch_ptr 0
		.amdhsa_user_sgpr_queue_ptr 0
		.amdhsa_user_sgpr_kernarg_segment_ptr 1
		.amdhsa_user_sgpr_dispatch_id 0
		.amdhsa_user_sgpr_flat_scratch_init 0
		.amdhsa_user_sgpr_private_segment_size 0
		.amdhsa_uses_dynamic_stack 0
		.amdhsa_system_sgpr_private_segment_wavefront_offset 0
		.amdhsa_system_sgpr_workgroup_id_x 1
		.amdhsa_system_sgpr_workgroup_id_y 0
		.amdhsa_system_sgpr_workgroup_id_z 0
		.amdhsa_system_sgpr_workgroup_info 0
		.amdhsa_system_vgpr_workitem_id 0
		.amdhsa_next_free_vgpr 29
		.amdhsa_next_free_sgpr 61
		.amdhsa_reserve_vcc 1
		.amdhsa_reserve_flat_scratch 0
		.amdhsa_float_round_mode_32 0
		.amdhsa_float_round_mode_16_64 0
		.amdhsa_float_denorm_mode_32 3
		.amdhsa_float_denorm_mode_16_64 3
		.amdhsa_dx10_clamp 1
		.amdhsa_ieee_mode 1
		.amdhsa_fp16_overflow 0
		.amdhsa_exception_fp_ieee_invalid_op 0
		.amdhsa_exception_fp_denorm_src 0
		.amdhsa_exception_fp_ieee_div_zero 0
		.amdhsa_exception_fp_ieee_overflow 0
		.amdhsa_exception_fp_ieee_underflow 0
		.amdhsa_exception_fp_ieee_inexact 0
		.amdhsa_exception_int_div_zero 0
	.end_amdhsa_kernel
	.text
.Lfunc_end1:
	.size	_Z7colYGPUPji, .Lfunc_end1-_Z7colYGPUPji
                                        ; -- End function
	.set _Z7colYGPUPji.num_vgpr, 11
	.set _Z7colYGPUPji.num_agpr, 0
	.set _Z7colYGPUPji.numbered_sgpr, 6
	.set _Z7colYGPUPji.num_named_barrier, 0
	.set _Z7colYGPUPji.private_seg_size, 0
	.set _Z7colYGPUPji.uses_vcc, 1
	.set _Z7colYGPUPji.uses_flat_scratch, 0
	.set _Z7colYGPUPji.has_dyn_sized_stack, 0
	.set _Z7colYGPUPji.has_recursion, 0
	.set _Z7colYGPUPji.has_indirect_call, 0
	.section	.AMDGPU.csdata,"",@progbits
; Kernel info:
; codeLenInByte = 732
; TotalNumSgprs: 10
; NumVgprs: 11
; ScratchSize: 0
; MemoryBound: 0
; FloatMode: 240
; IeeeMode: 1
; LDSByteSize: 3072 bytes/workgroup (compile time only)
; SGPRBlocks: 8
; VGPRBlocks: 7
; NumSGPRsForWavesPerEU: 65
; NumVGPRsForWavesPerEU: 29
; Occupancy: 8
; WaveLimiterHint : 1
; COMPUTE_PGM_RSRC2:SCRATCH_EN: 0
; COMPUTE_PGM_RSRC2:USER_SGPR: 6
; COMPUTE_PGM_RSRC2:TRAP_HANDLER: 0
; COMPUTE_PGM_RSRC2:TGID_X_EN: 1
; COMPUTE_PGM_RSRC2:TGID_Y_EN: 0
; COMPUTE_PGM_RSRC2:TGID_Z_EN: 0
; COMPUTE_PGM_RSRC2:TIDIG_COMP_CNT: 0
	.text
	.protected	_Z10lastEntGPUPjS_ii    ; -- Begin function _Z10lastEntGPUPjS_ii
	.globl	_Z10lastEntGPUPjS_ii
	.p2align	8
	.type	_Z10lastEntGPUPjS_ii,@function
_Z10lastEntGPUPjS_ii:                   ; @_Z10lastEntGPUPjS_ii
; %bb.0:
	s_load_dwordx2 s[0:1], s[4:5], 0x8
	v_lshlrev_b32_e32 v1, 2, v0
	s_movk_i32 s2, 0x100
	v_cmp_gt_u32_e32 vcc, s2, v0
	s_waitcnt lgkmcnt(0)
	global_load_dword v2, v1, s[0:1]
	s_waitcnt vmcnt(0)
	ds_write_b32 v1, v2
	s_waitcnt lgkmcnt(0)
	s_barrier
	s_and_saveexec_b64 s[2:3], vcc
	s_cbranch_execz .LBB2_2
; %bb.1:
	v_mov_b32_e32 v3, s1
	v_add_co_u32_e64 v2, s[0:1], s0, v1
	v_addc_co_u32_e64 v3, s[0:1], 0, v3, s[0:1]
	global_load_dword v2, v[2:3], off offset:2048
	s_waitcnt vmcnt(0)
	ds_write_b32 v1, v2 offset:2048
.LBB2_2:
	s_or_b64 exec, exec, s[2:3]
	s_waitcnt lgkmcnt(0)
	s_barrier
	ds_read_b32 v2, v1 offset:1024
	s_load_dwordx2 s[2:3], s[4:5], 0x10
	s_waitcnt lgkmcnt(0)
	ds_write2st64_b32 v1, v2, v2 offset0:12 offset1:20
	ds_write_b32 v1, v2 offset:7168
	s_waitcnt lgkmcnt(0)
	s_barrier
	ds_read_b32 v2, v1 offset:716
	ds_read_b32 v3, v1 offset:3072
	s_cmp_lt_i32 s3, 2
	s_waitcnt lgkmcnt(0)
	v_add_u32_e32 v2, v3, v2
	ds_write_b32 v1, v2 offset:3072
	s_waitcnt lgkmcnt(0)
	s_barrier
	ds_read2_b32 v[2:3], v1 offset0:119 offset1:196
	ds_read_b32 v4, v1 offset:5120
	s_waitcnt lgkmcnt(0)
	v_add3_u32 v2, v2, v3, v4
	ds_write_b32 v1, v2 offset:5120
	s_waitcnt lgkmcnt(0)
	s_barrier
	ds_read2st64_b32 v[2:3], v1 offset0:3 offset1:28
	ds_read2_b32 v[4:5], v1 offset0:55 offset1:132
	s_waitcnt lgkmcnt(0)
	v_add_u32_e32 v2, v5, v2
	v_add3_u32 v2, v2, v4, v3
	ds_write_b32 v1, v2 offset:7168
	s_waitcnt lgkmcnt(0)
	s_barrier
	s_cbranch_scc1 .LBB2_15
; %bb.3:
	s_load_dwordx2 s[4:5], s[4:5], 0x0
	v_add_u32_e32 v0, s2, v0
	v_add_u32_e32 v8, 0xffffff00, v0
	v_ashrrev_i32_e32 v9, 31, v8
	v_add_u32_e32 v3, 0x7d8, v1
	s_waitcnt lgkmcnt(0)
	s_add_u32 s12, s4, 0xfffffc00
	s_addc_u32 s13, s5, -1
	s_add_u32 s14, s4, 0xfffffd34
	s_addc_u32 s15, s5, -1
	s_add_u32 s16, s4, 0xfffffe24
	s_addc_u32 s17, s5, -1
	v_add_u32_e32 v4, 0xfd4, v1
	v_add_u32_e32 v5, 0x17e4, v1
	;; [unrolled: 1-line block ×3, first 2 shown]
	s_add_u32 s18, s4, 0xffffff24
	v_lshlrev_b64 v[0:1], 2, v[8:9]
	s_addc_u32 s19, s5, -1
	s_mov_b32 s20, 1
	v_mov_b32_e32 v7, 0
	s_mov_b32 s6, s2
	s_branch .LBB2_5
.LBB2_4:                                ;   in Loop: Header=BB2_5 Depth=1
	s_or_b64 exec, exec, s[8:9]
	s_add_i32 s20, s20, 1
	s_add_i32 s6, s6, s2
	s_cmp_eq_u32 s20, s3
	s_waitcnt vmcnt(0)
	s_barrier
	s_cbranch_scc1 .LBB2_15
.LBB2_5:                                ; =>This Loop Header: Depth=1
                                        ;     Child Loop BB2_7 Depth 2
                                        ;     Child Loop BB2_9 Depth 2
	;; [unrolled: 1-line block ×4, first 2 shown]
	s_and_saveexec_b64 s[8:9], vcc
	s_cbranch_execz .LBB2_4
; %bb.6:                                ;   in Loop: Header=BB2_5 Depth=1
	s_ashr_i32 s7, s6, 31
	s_lshl_b64 s[0:1], s[6:7], 2
	s_add_u32 s10, s12, s0
	s_addc_u32 s11, s13, s1
	s_mov_b32 s7, 0
	v_mov_b32_e32 v2, 0
.LBB2_7:                                ;   Parent Loop BB2_5 Depth=1
                                        ; =>  This Inner Loop Header: Depth=2
	global_load_dwordx4 v[8:11], v7, s[10:11]
	global_load_dwordx4 v[12:15], v7, s[10:11] offset:16
	global_load_dwordx3 v[16:18], v7, s[10:11] offset:32
	v_add_u32_e32 v27, s7, v3
	ds_read_b32 v29, v27 offset:40
	ds_read2_b32 v[19:20], v27 offset0:8 offset1:9
	ds_read2_b32 v[21:22], v27 offset0:6 offset1:7
	;; [unrolled: 1-line block ×4, first 2 shown]
	ds_read2_b32 v[27:28], v27 offset1:1
	s_sub_i32 s7, s7, 44
	s_add_u32 s10, s10, 44
	s_addc_u32 s11, s11, 0
	s_cmpk_lg_i32 s7, 0xfecc
	s_waitcnt vmcnt(2) lgkmcnt(5)
	v_mad_u64_u32 v[29:30], s[22:23], v29, v8, v[2:3]
	s_waitcnt lgkmcnt(4)
	v_mul_lo_u32 v2, v20, v9
	v_mul_lo_u32 v8, v19, v10
	s_waitcnt lgkmcnt(3)
	v_mul_lo_u32 v9, v22, v11
	s_waitcnt vmcnt(1)
	v_mul_lo_u32 v10, v21, v12
	s_waitcnt lgkmcnt(2)
	v_mul_lo_u32 v11, v24, v13
	v_mul_lo_u32 v12, v23, v14
	s_waitcnt lgkmcnt(1)
	v_mul_lo_u32 v13, v26, v15
	s_waitcnt vmcnt(0)
	v_mul_lo_u32 v14, v25, v16
	s_waitcnt lgkmcnt(0)
	v_mul_lo_u32 v15, v28, v17
	v_mul_lo_u32 v16, v27, v18
	v_add3_u32 v2, v2, v29, v8
	v_add3_u32 v2, v9, v2, v10
	;; [unrolled: 1-line block ×5, first 2 shown]
	s_cbranch_scc1 .LBB2_7
; %bb.8:                                ;   in Loop: Header=BB2_5 Depth=1
	s_add_u32 s10, s14, s0
	s_addc_u32 s11, s15, s1
	s_mov_b32 s7, 0
.LBB2_9:                                ;   Parent Loop BB2_5 Depth=1
                                        ; =>  This Inner Loop Header: Depth=2
	global_load_dwordx4 v[8:11], v7, s[10:11]
	global_load_dwordx4 v[12:15], v7, s[10:11] offset:16
	global_load_dwordx4 v[16:19], v7, s[10:11] offset:32
	v_add_u32_e32 v30, s7, v4
	ds_read2_b32 v[20:21], v30 offset0:10 offset1:11
	ds_read2_b32 v[22:23], v30 offset0:8 offset1:9
	;; [unrolled: 1-line block ×5, first 2 shown]
	s_sub_i32 s7, s7, 48
	s_add_u32 s10, s10, 48
	s_addc_u32 s11, s11, 0
	s_cmpk_lg_i32 s7, 0xff10
	s_waitcnt vmcnt(2) lgkmcnt(4)
	v_mul_lo_u32 v21, v21, v8
	v_mul_lo_u32 v20, v20, v9
	ds_read2_b32 v[8:9], v30 offset1:1
	s_waitcnt lgkmcnt(4)
	v_mul_lo_u32 v10, v23, v10
	v_mul_lo_u32 v11, v22, v11
	s_waitcnt vmcnt(1) lgkmcnt(3)
	v_mul_lo_u32 v12, v25, v12
	v_mul_lo_u32 v13, v24, v13
	s_waitcnt lgkmcnt(2)
	v_mul_lo_u32 v14, v27, v14
	v_mul_lo_u32 v15, v26, v15
	s_waitcnt vmcnt(0) lgkmcnt(1)
	v_mul_lo_u32 v16, v29, v16
	v_mul_lo_u32 v17, v28, v17
	v_add3_u32 v2, v21, v2, v20
	s_waitcnt lgkmcnt(0)
	v_mul_lo_u32 v9, v9, v18
	v_mul_lo_u32 v8, v8, v19
	v_add3_u32 v2, v10, v2, v11
	v_add3_u32 v2, v12, v2, v13
	v_add3_u32 v2, v14, v2, v15
	v_add3_u32 v2, v16, v2, v17
	v_add3_u32 v2, v9, v2, v8
	s_cbranch_scc1 .LBB2_9
; %bb.10:                               ;   in Loop: Header=BB2_5 Depth=1
	s_add_u32 s10, s16, s0
	s_addc_u32 s11, s17, s1
	s_mov_b32 s7, 0
.LBB2_11:                               ;   Parent Loop BB2_5 Depth=1
                                        ; =>  This Inner Loop Header: Depth=2
	global_load_dwordx4 v[8:11], v7, s[10:11]
	global_load_dwordx4 v[12:15], v7, s[10:11] offset:16
	v_add_u32_e32 v22, s7, v5
	ds_read2_b32 v[16:17], v22 offset0:6 offset1:7
	ds_read2_b32 v[18:19], v22 offset0:4 offset1:5
	;; [unrolled: 1-line block ×3, first 2 shown]
	ds_read2_b32 v[22:23], v22 offset1:1
	s_sub_i32 s7, s7, 32
	s_add_u32 s10, s10, 32
	s_addc_u32 s11, s11, 0
	s_cmpk_lg_i32 s7, 0xff00
	s_waitcnt vmcnt(1) lgkmcnt(3)
	v_mul_lo_u32 v8, v17, v8
	v_mul_lo_u32 v9, v16, v9
	s_waitcnt lgkmcnt(2)
	v_mul_lo_u32 v10, v19, v10
	v_mul_lo_u32 v11, v18, v11
	s_waitcnt vmcnt(0) lgkmcnt(1)
	v_mul_lo_u32 v12, v21, v12
	v_mul_lo_u32 v13, v20, v13
	s_waitcnt lgkmcnt(0)
	v_mul_lo_u32 v14, v23, v14
	v_mul_lo_u32 v15, v22, v15
	v_add3_u32 v2, v8, v2, v9
	v_add3_u32 v2, v10, v2, v11
	;; [unrolled: 1-line block ×4, first 2 shown]
	s_cbranch_scc1 .LBB2_11
; %bb.12:                               ;   in Loop: Header=BB2_5 Depth=1
	s_add_u32 s0, s18, s0
	s_addc_u32 s1, s19, s1
	s_mov_b32 s7, 0
.LBB2_13:                               ;   Parent Loop BB2_5 Depth=1
                                        ; =>  This Inner Loop Header: Depth=2
	global_load_dwordx4 v[8:11], v7, s[0:1]
	global_load_dwordx4 v[12:15], v7, s[0:1] offset:16
	global_load_dwordx3 v[16:18], v7, s[0:1] offset:32
	v_add_u32_e32 v27, s7, v6
	ds_read_b32 v29, v27 offset:40
	ds_read2_b32 v[19:20], v27 offset0:8 offset1:9
	ds_read2_b32 v[21:22], v27 offset0:6 offset1:7
	;; [unrolled: 1-line block ×4, first 2 shown]
	ds_read2_b32 v[27:28], v27 offset1:1
	s_sub_i32 s7, s7, 44
	s_add_u32 s0, s0, 44
	s_addc_u32 s1, s1, 0
	s_cmpk_eq_i32 s7, 0xff24
	s_waitcnt vmcnt(2) lgkmcnt(5)
	v_mad_u64_u32 v[29:30], s[10:11], v29, v8, v[2:3]
	s_waitcnt lgkmcnt(4)
	v_mul_lo_u32 v2, v20, v9
	v_mul_lo_u32 v8, v19, v10
	s_waitcnt lgkmcnt(3)
	v_mul_lo_u32 v9, v22, v11
	s_waitcnt vmcnt(1)
	v_mul_lo_u32 v10, v21, v12
	s_waitcnt lgkmcnt(2)
	v_mul_lo_u32 v11, v24, v13
	v_mul_lo_u32 v12, v23, v14
	s_waitcnt lgkmcnt(1)
	v_mul_lo_u32 v13, v26, v15
	s_waitcnt vmcnt(0)
	v_mul_lo_u32 v14, v25, v16
	s_waitcnt lgkmcnt(0)
	v_mul_lo_u32 v15, v28, v17
	v_mul_lo_u32 v16, v27, v18
	v_add3_u32 v2, v2, v29, v8
	v_add3_u32 v2, v9, v2, v10
	;; [unrolled: 1-line block ×5, first 2 shown]
	s_cbranch_scc0 .LBB2_13
; %bb.14:                               ;   in Loop: Header=BB2_5 Depth=1
	s_mul_i32 s0, s20, s2
	s_ashr_i32 s1, s0, 31
	s_lshl_b64 s[0:1], s[0:1], 2
	s_add_u32 s0, s4, s0
	s_addc_u32 s1, s5, s1
	v_mov_b32_e32 v9, s1
	v_add_co_u32_e64 v8, s[0:1], s0, v0
	v_addc_co_u32_e64 v9, s[0:1], v9, v1, s[0:1]
	global_store_dword v[8:9], v2, off
	s_branch .LBB2_4
.LBB2_15:
	s_endpgm
	.section	.rodata,"a",@progbits
	.p2align	6, 0x0
	.amdhsa_kernel _Z10lastEntGPUPjS_ii
		.amdhsa_group_segment_fixed_size 9216
		.amdhsa_private_segment_fixed_size 0
		.amdhsa_kernarg_size 24
		.amdhsa_user_sgpr_count 6
		.amdhsa_user_sgpr_private_segment_buffer 1
		.amdhsa_user_sgpr_dispatch_ptr 0
		.amdhsa_user_sgpr_queue_ptr 0
		.amdhsa_user_sgpr_kernarg_segment_ptr 1
		.amdhsa_user_sgpr_dispatch_id 0
		.amdhsa_user_sgpr_flat_scratch_init 0
		.amdhsa_user_sgpr_private_segment_size 0
		.amdhsa_uses_dynamic_stack 0
		.amdhsa_system_sgpr_private_segment_wavefront_offset 0
		.amdhsa_system_sgpr_workgroup_id_x 1
		.amdhsa_system_sgpr_workgroup_id_y 0
		.amdhsa_system_sgpr_workgroup_id_z 0
		.amdhsa_system_sgpr_workgroup_info 0
		.amdhsa_system_vgpr_workitem_id 0
		.amdhsa_next_free_vgpr 31
		.amdhsa_next_free_sgpr 61
		.amdhsa_reserve_vcc 1
		.amdhsa_reserve_flat_scratch 0
		.amdhsa_float_round_mode_32 0
		.amdhsa_float_round_mode_16_64 0
		.amdhsa_float_denorm_mode_32 3
		.amdhsa_float_denorm_mode_16_64 3
		.amdhsa_dx10_clamp 1
		.amdhsa_ieee_mode 1
		.amdhsa_fp16_overflow 0
		.amdhsa_exception_fp_ieee_invalid_op 0
		.amdhsa_exception_fp_denorm_src 0
		.amdhsa_exception_fp_ieee_div_zero 0
		.amdhsa_exception_fp_ieee_overflow 0
		.amdhsa_exception_fp_ieee_underflow 0
		.amdhsa_exception_fp_ieee_inexact 0
		.amdhsa_exception_int_div_zero 0
	.end_amdhsa_kernel
	.text
.Lfunc_end2:
	.size	_Z10lastEntGPUPjS_ii, .Lfunc_end2-_Z10lastEntGPUPjS_ii
                                        ; -- End function
	.set _Z10lastEntGPUPjS_ii.num_vgpr, 31
	.set _Z10lastEntGPUPjS_ii.num_agpr, 0
	.set _Z10lastEntGPUPjS_ii.numbered_sgpr, 24
	.set _Z10lastEntGPUPjS_ii.num_named_barrier, 0
	.set _Z10lastEntGPUPjS_ii.private_seg_size, 0
	.set _Z10lastEntGPUPjS_ii.uses_vcc, 1
	.set _Z10lastEntGPUPjS_ii.uses_flat_scratch, 0
	.set _Z10lastEntGPUPjS_ii.has_dyn_sized_stack, 0
	.set _Z10lastEntGPUPjS_ii.has_recursion, 0
	.set _Z10lastEntGPUPjS_ii.has_indirect_call, 0
	.section	.AMDGPU.csdata,"",@progbits
; Kernel info:
; codeLenInByte = 1540
; TotalNumSgprs: 28
; NumVgprs: 31
; ScratchSize: 0
; MemoryBound: 0
; FloatMode: 240
; IeeeMode: 1
; LDSByteSize: 9216 bytes/workgroup (compile time only)
; SGPRBlocks: 8
; VGPRBlocks: 7
; NumSGPRsForWavesPerEU: 65
; NumVGPRsForWavesPerEU: 31
; Occupancy: 8
; WaveLimiterHint : 0
; COMPUTE_PGM_RSRC2:SCRATCH_EN: 0
; COMPUTE_PGM_RSRC2:USER_SGPR: 6
; COMPUTE_PGM_RSRC2:TRAP_HANDLER: 0
; COMPUTE_PGM_RSRC2:TGID_X_EN: 1
; COMPUTE_PGM_RSRC2:TGID_Y_EN: 0
; COMPUTE_PGM_RSRC2:TGID_Z_EN: 0
; COMPUTE_PGM_RSRC2:TIDIG_COMP_CNT: 0
	.text
	.protected	_Z7colsGPUPjii          ; -- Begin function _Z7colsGPUPjii
	.globl	_Z7colsGPUPjii
	.p2align	8
	.type	_Z7colsGPUPjii,@function
_Z7colsGPUPjii:                         ; @_Z7colsGPUPjii
; %bb.0:
	s_load_dword s0, s[4:5], 0x10
	s_load_dwordx2 s[8:9], s[4:5], 0x8
	s_mov_b32 s12, 8
	s_waitcnt lgkmcnt(0)
	s_add_i32 s0, s0, -1
	s_cmp_eq_u32 s6, s0
	s_cselect_b64 s[10:11], -1, 0
	s_cmp_lg_u32 s6, s0
	s_cbranch_scc1 .LBB3_2
; %bb.1:
	s_ashr_i32 s0, s9, 31
	s_lshr_b32 s0, s0, 29
	s_add_i32 s0, s9, s0
	s_and_b32 s0, s0, -8
	s_sub_i32 s0, s9, s0
	s_cmp_lg_u32 s0, 0
	s_cselect_b32 s12, s0, 8
.LBB3_2:
	s_lshl_b32 s7, s6, 3
	s_load_dwordx2 s[4:5], s[4:5], 0x0
	s_cmp_eq_u32 s6, 0
	s_cselect_b64 s[0:1], -1, 0
	v_cndmask_b32_e64 v3, 0, 1, s[0:1]
	v_cmp_le_i32_e32 vcc, s12, v3
	v_readfirstlane_b32 s9, v3
	v_lshlrev_b32_e32 v4, 2, v0
	s_cbranch_vccnz .LBB3_5
; %bb.3:
	s_add_i32 s0, s7, s9
	s_mul_i32 s0, s8, s0
	v_add_u32_e32 v1, s0, v0
	v_add_u32_e32 v1, 0xffffff00, v1
	v_lshl_add_u32 v5, s9, 11, v4
	v_mov_b32_e32 v2, 0
	s_waitcnt lgkmcnt(0)
	v_mov_b32_e32 v6, s5
	s_mov_b32 s0, s9
.LBB3_4:                                ; =>This Inner Loop Header: Depth=1
	v_lshlrev_b64 v[7:8], 2, v[1:2]
	s_add_i32 s0, s0, 1
	v_add_co_u32_e32 v7, vcc, s4, v7
	v_addc_co_u32_e32 v8, vcc, v6, v8, vcc
	global_load_dword v7, v[7:8], off
	v_add_u32_e32 v1, s8, v1
	s_cmp_ge_i32 s0, s12
	s_waitcnt vmcnt(0)
	ds_write_b32 v5, v7
	v_add_u32_e32 v5, 0x800, v5
	s_cbranch_scc0 .LBB3_4
.LBB3_5:
	s_cmpk_lt_i32 s8, 0x200
	s_waitcnt lgkmcnt(0)
	s_barrier
	s_cbranch_scc1 .LBB3_26
; %bb.6:
	v_lshrrev_b32_e32 v1, 5, v0
	v_and_b32_e32 v2, 31, v0
	v_cmp_gt_i32_e64 s[0:1], s12, v3
	v_or_b32_e32 v3, s6, v0
	v_lshlrev_b32_e32 v2, 2, v2
	v_cmp_gt_i32_e64 s[2:3], s12, v1
	s_xor_b64 s[10:11], s[10:11], -1
	s_add_i32 s7, s7, s9
	s_lshr_b32 s14, s8, 8
	v_cmp_ne_u32_e32 vcc, 0, v3
	v_lshl_or_b32 v2, v1, 11, v2
	s_or_b64 s[2:3], s[10:11], s[2:3]
	s_mul_i32 s6, s8, s7
	s_mov_b32 s13, 0
	s_and_b64 s[2:3], vcc, s[2:3]
	s_add_i32 s10, s14, -2
	v_add_u32_e32 v3, s6, v0
	v_lshl_add_u32 v4, s9, 11, v4
	v_mov_b32_e32 v1, 0
	v_add_u32_e32 v5, 36, v2
	v_add_u32_e32 v6, 0xa4, v2
	;; [unrolled: 1-line block ×3, first 2 shown]
	s_branch .LBB3_8
.LBB3_7:                                ;   in Loop: Header=BB3_8 Depth=1
	s_add_i32 s6, s13, 1
	v_add_u32_e32 v3, 0x100, v3
	s_cmp_eq_u32 s13, s10
	s_mov_b32 s13, s6
	s_waitcnt vmcnt(0) lgkmcnt(0)
	s_barrier
	s_cbranch_scc1 .LBB3_26
.LBB3_8:                                ; =>This Loop Header: Depth=1
                                        ;     Child Loop BB3_25 Depth 2
	s_and_saveexec_b64 s[6:7], s[2:3]
	s_cbranch_execz .LBB3_10
; %bb.9:                                ;   in Loop: Header=BB3_8 Depth=1
	ds_read2_b32 v[8:9], v2 offset0:137 offset1:201
	ds_read2_b32 v[10:11], v2 offset1:77
	s_waitcnt lgkmcnt(1)
	v_add_u32_e32 v0, v8, v9
	s_waitcnt lgkmcnt(0)
	v_add3_u32 v0, v0, v11, v10
	ds_write_b32 v2, v0 offset:1024
.LBB3_10:                               ;   in Loop: Header=BB3_8 Depth=1
	s_or_b64 exec, exec, s[6:7]
	s_waitcnt lgkmcnt(0)
	s_barrier
	s_and_saveexec_b64 s[6:7], s[2:3]
	s_cbranch_execz .LBB3_12
; %bb.11:                               ;   in Loop: Header=BB3_8 Depth=1
	ds_read2_b32 v[8:9], v2 offset0:169 offset1:233
	ds_read2_b32 v[10:11], v2 offset0:32 offset1:109
	s_waitcnt lgkmcnt(1)
	v_add_u32_e32 v0, v8, v9
	s_waitcnt lgkmcnt(0)
	v_add3_u32 v0, v0, v11, v10
	ds_write_b32 v2, v0 offset:1152
.LBB3_12:                               ;   in Loop: Header=BB3_8 Depth=1
	s_or_b64 exec, exec, s[6:7]
	s_waitcnt lgkmcnt(0)
	s_barrier
	s_and_saveexec_b64 s[6:7], s[2:3]
	s_cbranch_execz .LBB3_14
; %bb.13:                               ;   in Loop: Header=BB3_8 Depth=1
	ds_read2st64_b32 v[8:9], v5 offset0:3 offset1:4
	ds_read2_b32 v[10:11], v2 offset0:64 offset1:141
	s_waitcnt lgkmcnt(1)
	v_add_u32_e32 v0, v8, v9
	s_waitcnt lgkmcnt(0)
	v_add3_u32 v0, v0, v11, v10
	ds_write_b32 v2, v0 offset:1280
.LBB3_14:                               ;   in Loop: Header=BB3_8 Depth=1
	s_or_b64 exec, exec, s[6:7]
	s_waitcnt lgkmcnt(0)
	s_barrier
	s_and_saveexec_b64 s[6:7], s[2:3]
	s_cbranch_execz .LBB3_16
; %bb.15:                               ;   in Loop: Header=BB3_8 Depth=1
	ds_read2st64_b32 v[8:9], v6 offset0:3 offset1:4
	ds_read2_b32 v[10:11], v2 offset0:96 offset1:173
	s_waitcnt lgkmcnt(1)
	v_add_u32_e32 v0, v8, v9
	s_waitcnt lgkmcnt(0)
	v_add3_u32 v0, v0, v11, v10
	ds_write_b32 v2, v0 offset:1408
.LBB3_16:                               ;   in Loop: Header=BB3_8 Depth=1
	;; [unrolled: 14-line block ×6, first 2 shown]
	s_or_b64 exec, exec, s[6:7]
	s_and_b64 vcc, exec, s[0:1]
	v_mov_b32_e32 v8, v4
	v_mov_b32_e32 v0, v3
	s_mov_b32 s6, s9
	s_waitcnt lgkmcnt(0)
	s_barrier
	s_cbranch_vccz .LBB3_7
.LBB3_25:                               ;   Parent Loop BB3_8 Depth=1
                                        ; =>  This Inner Loop Header: Depth=2
	ds_read_b32 v11, v8 offset:1024
	v_lshlrev_b64 v[9:10], 2, v[0:1]
	v_mov_b32_e32 v12, s5
	v_add_co_u32_e32 v9, vcc, s4, v9
	s_add_i32 s6, s6, 1
	s_waitcnt lgkmcnt(0)
	ds_write_b32 v8, v11
	v_addc_co_u32_e32 v10, vcc, v12, v10, vcc
	v_add_u32_e32 v0, s8, v0
	s_cmp_ge_i32 s6, s12
	v_add_u32_e32 v8, 0x800, v8
	global_store_dword v[9:10], v11, off
	s_cbranch_scc0 .LBB3_25
	s_branch .LBB3_7
.LBB3_26:
	s_endpgm
	.section	.rodata,"a",@progbits
	.p2align	6, 0x0
	.amdhsa_kernel _Z7colsGPUPjii
		.amdhsa_group_segment_fixed_size 16384
		.amdhsa_private_segment_fixed_size 0
		.amdhsa_kernarg_size 272
		.amdhsa_user_sgpr_count 6
		.amdhsa_user_sgpr_private_segment_buffer 1
		.amdhsa_user_sgpr_dispatch_ptr 0
		.amdhsa_user_sgpr_queue_ptr 0
		.amdhsa_user_sgpr_kernarg_segment_ptr 1
		.amdhsa_user_sgpr_dispatch_id 0
		.amdhsa_user_sgpr_flat_scratch_init 0
		.amdhsa_user_sgpr_private_segment_size 0
		.amdhsa_uses_dynamic_stack 0
		.amdhsa_system_sgpr_private_segment_wavefront_offset 0
		.amdhsa_system_sgpr_workgroup_id_x 1
		.amdhsa_system_sgpr_workgroup_id_y 0
		.amdhsa_system_sgpr_workgroup_id_z 0
		.amdhsa_system_sgpr_workgroup_info 0
		.amdhsa_system_vgpr_workitem_id 0
		.amdhsa_next_free_vgpr 29
		.amdhsa_next_free_sgpr 61
		.amdhsa_reserve_vcc 1
		.amdhsa_reserve_flat_scratch 0
		.amdhsa_float_round_mode_32 0
		.amdhsa_float_round_mode_16_64 0
		.amdhsa_float_denorm_mode_32 3
		.amdhsa_float_denorm_mode_16_64 3
		.amdhsa_dx10_clamp 1
		.amdhsa_ieee_mode 1
		.amdhsa_fp16_overflow 0
		.amdhsa_exception_fp_ieee_invalid_op 0
		.amdhsa_exception_fp_denorm_src 0
		.amdhsa_exception_fp_ieee_div_zero 0
		.amdhsa_exception_fp_ieee_overflow 0
		.amdhsa_exception_fp_ieee_underflow 0
		.amdhsa_exception_fp_ieee_inexact 0
		.amdhsa_exception_int_div_zero 0
	.end_amdhsa_kernel
	.text
.Lfunc_end3:
	.size	_Z7colsGPUPjii, .Lfunc_end3-_Z7colsGPUPjii
                                        ; -- End function
	.set _Z7colsGPUPjii.num_vgpr, 13
	.set _Z7colsGPUPjii.num_agpr, 0
	.set _Z7colsGPUPjii.numbered_sgpr, 15
	.set _Z7colsGPUPjii.num_named_barrier, 0
	.set _Z7colsGPUPjii.private_seg_size, 0
	.set _Z7colsGPUPjii.uses_vcc, 1
	.set _Z7colsGPUPjii.uses_flat_scratch, 0
	.set _Z7colsGPUPjii.has_dyn_sized_stack, 0
	.set _Z7colsGPUPjii.has_recursion, 0
	.set _Z7colsGPUPjii.has_indirect_call, 0
	.section	.AMDGPU.csdata,"",@progbits
; Kernel info:
; codeLenInByte = 996
; TotalNumSgprs: 19
; NumVgprs: 13
; ScratchSize: 0
; MemoryBound: 0
; FloatMode: 240
; IeeeMode: 1
; LDSByteSize: 16384 bytes/workgroup (compile time only)
; SGPRBlocks: 8
; VGPRBlocks: 7
; NumSGPRsForWavesPerEU: 65
; NumVGPRsForWavesPerEU: 29
; Occupancy: 8
; WaveLimiterHint : 0
; COMPUTE_PGM_RSRC2:SCRATCH_EN: 0
; COMPUTE_PGM_RSRC2:USER_SGPR: 6
; COMPUTE_PGM_RSRC2:TRAP_HANDLER: 0
; COMPUTE_PGM_RSRC2:TGID_X_EN: 1
; COMPUTE_PGM_RSRC2:TGID_Y_EN: 0
; COMPUTE_PGM_RSRC2:TGID_Z_EN: 0
; COMPUTE_PGM_RSRC2:TIDIG_COMP_CNT: 0
	.section	.AMDGPU.gpr_maximums,"",@progbits
	.set amdgpu.max_num_vgpr, 0
	.set amdgpu.max_num_agpr, 0
	.set amdgpu.max_num_sgpr, 0
	.section	.AMDGPU.csdata,"",@progbits
	.type	__hip_cuid_4267e57fb5f1feb7,@object ; @__hip_cuid_4267e57fb5f1feb7
	.section	.bss,"aw",@nobits
	.globl	__hip_cuid_4267e57fb5f1feb7
__hip_cuid_4267e57fb5f1feb7:
	.byte	0                               ; 0x0
	.size	__hip_cuid_4267e57fb5f1feb7, 1

	.ident	"AMD clang version 22.0.0git (https://github.com/RadeonOpenCompute/llvm-project roc-7.2.4 26084 f58b06dce1f9c15707c5f808fd002e18c2accf7e)"
	.section	".note.GNU-stack","",@progbits
	.addrsig
	.addrsig_sym __hip_cuid_4267e57fb5f1feb7
	.amdgpu_metadata
---
amdhsa.kernels:
  - .args:
      - .address_space:  global
        .offset:         0
        .size:           8
        .value_kind:     global_buffer
      - .offset:         8
        .size:           4
        .value_kind:     by_value
    .group_segment_fixed_size: 2048
    .kernarg_segment_align: 8
    .kernarg_segment_size: 12
    .language:       OpenCL C
    .language_version:
      - 2
      - 0
    .max_flat_workgroup_size: 1024
    .name:           _Z11firstColGPUPji
    .private_segment_fixed_size: 0
    .sgpr_count:     10
    .sgpr_spill_count: 0
    .symbol:         _Z11firstColGPUPji.kd
    .uniform_work_group_size: 1
    .uses_dynamic_stack: false
    .vgpr_count:     10
    .vgpr_spill_count: 0
    .wavefront_size: 64
  - .args:
      - .address_space:  global
        .offset:         0
        .size:           8
        .value_kind:     global_buffer
      - .offset:         8
        .size:           4
        .value_kind:     by_value
    .group_segment_fixed_size: 3072
    .kernarg_segment_align: 8
    .kernarg_segment_size: 12
    .language:       OpenCL C
    .language_version:
      - 2
      - 0
    .max_flat_workgroup_size: 1024
    .name:           _Z7colYGPUPji
    .private_segment_fixed_size: 0
    .sgpr_count:     10
    .sgpr_spill_count: 0
    .symbol:         _Z7colYGPUPji.kd
    .uniform_work_group_size: 1
    .uses_dynamic_stack: false
    .vgpr_count:     11
    .vgpr_spill_count: 0
    .wavefront_size: 64
  - .args:
      - .address_space:  global
        .offset:         0
        .size:           8
        .value_kind:     global_buffer
      - .actual_access:  read_only
        .address_space:  global
        .offset:         8
        .size:           8
        .value_kind:     global_buffer
      - .offset:         16
        .size:           4
        .value_kind:     by_value
      - .offset:         20
        .size:           4
        .value_kind:     by_value
    .group_segment_fixed_size: 9216
    .kernarg_segment_align: 8
    .kernarg_segment_size: 24
    .language:       OpenCL C
    .language_version:
      - 2
      - 0
    .max_flat_workgroup_size: 1024
    .name:           _Z10lastEntGPUPjS_ii
    .private_segment_fixed_size: 0
    .sgpr_count:     28
    .sgpr_spill_count: 0
    .symbol:         _Z10lastEntGPUPjS_ii.kd
    .uniform_work_group_size: 1
    .uses_dynamic_stack: false
    .vgpr_count:     31
    .vgpr_spill_count: 0
    .wavefront_size: 64
  - .args:
      - .address_space:  global
        .offset:         0
        .size:           8
        .value_kind:     global_buffer
      - .offset:         8
        .size:           4
        .value_kind:     by_value
      - .offset:         12
        .size:           4
        .value_kind:     by_value
      - .offset:         16
        .size:           4
        .value_kind:     hidden_block_count_x
      - .offset:         20
        .size:           4
        .value_kind:     hidden_block_count_y
      - .offset:         24
        .size:           4
        .value_kind:     hidden_block_count_z
      - .offset:         28
        .size:           2
        .value_kind:     hidden_group_size_x
      - .offset:         30
        .size:           2
        .value_kind:     hidden_group_size_y
      - .offset:         32
        .size:           2
        .value_kind:     hidden_group_size_z
      - .offset:         34
        .size:           2
        .value_kind:     hidden_remainder_x
      - .offset:         36
        .size:           2
        .value_kind:     hidden_remainder_y
      - .offset:         38
        .size:           2
        .value_kind:     hidden_remainder_z
      - .offset:         56
        .size:           8
        .value_kind:     hidden_global_offset_x
      - .offset:         64
        .size:           8
        .value_kind:     hidden_global_offset_y
      - .offset:         72
        .size:           8
        .value_kind:     hidden_global_offset_z
      - .offset:         80
        .size:           2
        .value_kind:     hidden_grid_dims
    .group_segment_fixed_size: 16384
    .kernarg_segment_align: 8
    .kernarg_segment_size: 272
    .language:       OpenCL C
    .language_version:
      - 2
      - 0
    .max_flat_workgroup_size: 1024
    .name:           _Z7colsGPUPjii
    .private_segment_fixed_size: 0
    .sgpr_count:     19
    .sgpr_spill_count: 0
    .symbol:         _Z7colsGPUPjii.kd
    .uniform_work_group_size: 1
    .uses_dynamic_stack: false
    .vgpr_count:     13
    .vgpr_spill_count: 0
    .wavefront_size: 64
amdhsa.target:   amdgcn-amd-amdhsa--gfx906
amdhsa.version:
  - 1
  - 2
...

	.end_amdgpu_metadata
